;; amdgpu-corpus repo=ROCm/rocFFT kind=compiled arch=gfx906 opt=O3
	.text
	.amdgcn_target "amdgcn-amd-amdhsa--gfx906"
	.amdhsa_code_object_version 6
	.protected	fft_rtc_back_len1056_factors_2_2_2_2_11_6_wgs_176_tpt_176_halfLds_sp_op_CI_CI_sbrr_dirReg ; -- Begin function fft_rtc_back_len1056_factors_2_2_2_2_11_6_wgs_176_tpt_176_halfLds_sp_op_CI_CI_sbrr_dirReg
	.globl	fft_rtc_back_len1056_factors_2_2_2_2_11_6_wgs_176_tpt_176_halfLds_sp_op_CI_CI_sbrr_dirReg
	.p2align	8
	.type	fft_rtc_back_len1056_factors_2_2_2_2_11_6_wgs_176_tpt_176_halfLds_sp_op_CI_CI_sbrr_dirReg,@function
fft_rtc_back_len1056_factors_2_2_2_2_11_6_wgs_176_tpt_176_halfLds_sp_op_CI_CI_sbrr_dirReg: ; @fft_rtc_back_len1056_factors_2_2_2_2_11_6_wgs_176_tpt_176_halfLds_sp_op_CI_CI_sbrr_dirReg
; %bb.0:
	s_load_dwordx4 s[16:19], s[4:5], 0x18
	s_load_dwordx4 s[12:15], s[4:5], 0x0
	;; [unrolled: 1-line block ×3, first 2 shown]
	v_mul_u32_u24_e32 v1, 0x175, v0
	v_mov_b32_e32 v7, 0
	s_waitcnt lgkmcnt(0)
	s_load_dwordx2 s[20:21], s[16:17], 0x0
	s_load_dwordx2 s[2:3], s[18:19], 0x0
	v_cmp_lt_u64_e64 s[0:1], s[14:15], 2
	v_mov_b32_e32 v5, 0
	v_add_u32_sdwa v9, s6, v1 dst_sel:DWORD dst_unused:UNUSED_PAD src0_sel:DWORD src1_sel:WORD_1
	v_mov_b32_e32 v10, v7
	s_and_b64 vcc, exec, s[0:1]
	v_mov_b32_e32 v6, 0
	s_cbranch_vccnz .LBB0_8
; %bb.1:
	s_load_dwordx2 s[0:1], s[4:5], 0x10
	s_add_u32 s6, s18, 8
	s_addc_u32 s7, s19, 0
	s_add_u32 s22, s16, 8
	s_addc_u32 s23, s17, 0
	v_mov_b32_e32 v5, 0
	s_waitcnt lgkmcnt(0)
	s_add_u32 s24, s0, 8
	v_mov_b32_e32 v6, 0
	v_mov_b32_e32 v1, v5
	s_addc_u32 s25, s1, 0
	s_mov_b64 s[26:27], 1
	v_mov_b32_e32 v2, v6
.LBB0_2:                                ; =>This Inner Loop Header: Depth=1
	s_load_dwordx2 s[28:29], s[24:25], 0x0
                                        ; implicit-def: $vgpr3_vgpr4
	s_waitcnt lgkmcnt(0)
	v_or_b32_e32 v8, s29, v10
	v_cmp_ne_u64_e32 vcc, 0, v[7:8]
	s_and_saveexec_b64 s[0:1], vcc
	s_xor_b64 s[30:31], exec, s[0:1]
	s_cbranch_execz .LBB0_4
; %bb.3:                                ;   in Loop: Header=BB0_2 Depth=1
	v_cvt_f32_u32_e32 v3, s28
	v_cvt_f32_u32_e32 v4, s29
	s_sub_u32 s0, 0, s28
	s_subb_u32 s1, 0, s29
	v_mac_f32_e32 v3, 0x4f800000, v4
	v_rcp_f32_e32 v3, v3
	v_mul_f32_e32 v3, 0x5f7ffffc, v3
	v_mul_f32_e32 v4, 0x2f800000, v3
	v_trunc_f32_e32 v4, v4
	v_mac_f32_e32 v3, 0xcf800000, v4
	v_cvt_u32_f32_e32 v4, v4
	v_cvt_u32_f32_e32 v3, v3
	v_mul_lo_u32 v8, s0, v4
	v_mul_hi_u32 v11, s0, v3
	v_mul_lo_u32 v13, s1, v3
	v_mul_lo_u32 v12, s0, v3
	v_add_u32_e32 v8, v11, v8
	v_add_u32_e32 v8, v8, v13
	v_mul_hi_u32 v11, v3, v12
	v_mul_lo_u32 v13, v3, v8
	v_mul_hi_u32 v15, v3, v8
	v_mul_hi_u32 v14, v4, v12
	v_mul_lo_u32 v12, v4, v12
	v_mul_hi_u32 v16, v4, v8
	v_add_co_u32_e32 v11, vcc, v11, v13
	v_addc_co_u32_e32 v13, vcc, 0, v15, vcc
	v_mul_lo_u32 v8, v4, v8
	v_add_co_u32_e32 v11, vcc, v11, v12
	v_addc_co_u32_e32 v11, vcc, v13, v14, vcc
	v_addc_co_u32_e32 v12, vcc, 0, v16, vcc
	v_add_co_u32_e32 v8, vcc, v11, v8
	v_addc_co_u32_e32 v11, vcc, 0, v12, vcc
	v_add_co_u32_e32 v3, vcc, v3, v8
	v_addc_co_u32_e32 v4, vcc, v4, v11, vcc
	v_mul_lo_u32 v8, s0, v4
	v_mul_hi_u32 v11, s0, v3
	v_mul_lo_u32 v12, s1, v3
	v_mul_lo_u32 v13, s0, v3
	v_add_u32_e32 v8, v11, v8
	v_add_u32_e32 v8, v8, v12
	v_mul_lo_u32 v14, v3, v8
	v_mul_hi_u32 v15, v3, v13
	v_mul_hi_u32 v16, v3, v8
	;; [unrolled: 1-line block ×3, first 2 shown]
	v_mul_lo_u32 v13, v4, v13
	v_mul_hi_u32 v11, v4, v8
	v_add_co_u32_e32 v14, vcc, v15, v14
	v_addc_co_u32_e32 v15, vcc, 0, v16, vcc
	v_mul_lo_u32 v8, v4, v8
	v_add_co_u32_e32 v13, vcc, v14, v13
	v_addc_co_u32_e32 v12, vcc, v15, v12, vcc
	v_addc_co_u32_e32 v11, vcc, 0, v11, vcc
	v_add_co_u32_e32 v8, vcc, v12, v8
	v_addc_co_u32_e32 v11, vcc, 0, v11, vcc
	v_add_co_u32_e32 v8, vcc, v3, v8
	v_addc_co_u32_e32 v11, vcc, v4, v11, vcc
	v_mad_u64_u32 v[3:4], s[0:1], v9, v11, 0
	v_mul_hi_u32 v12, v9, v8
	v_add_co_u32_e32 v13, vcc, v12, v3
	v_addc_co_u32_e32 v14, vcc, 0, v4, vcc
	v_mad_u64_u32 v[3:4], s[0:1], v10, v8, 0
	v_mad_u64_u32 v[11:12], s[0:1], v10, v11, 0
	v_add_co_u32_e32 v3, vcc, v13, v3
	v_addc_co_u32_e32 v3, vcc, v14, v4, vcc
	v_addc_co_u32_e32 v4, vcc, 0, v12, vcc
	v_add_co_u32_e32 v8, vcc, v3, v11
	v_addc_co_u32_e32 v11, vcc, 0, v4, vcc
	v_mul_lo_u32 v12, s29, v8
	v_mul_lo_u32 v13, s28, v11
	v_mad_u64_u32 v[3:4], s[0:1], s28, v8, 0
	v_add3_u32 v4, v4, v13, v12
	v_sub_u32_e32 v12, v10, v4
	v_mov_b32_e32 v13, s29
	v_sub_co_u32_e32 v3, vcc, v9, v3
	v_subb_co_u32_e64 v12, s[0:1], v12, v13, vcc
	v_subrev_co_u32_e64 v13, s[0:1], s28, v3
	v_subbrev_co_u32_e64 v12, s[0:1], 0, v12, s[0:1]
	v_cmp_le_u32_e64 s[0:1], s29, v12
	v_cndmask_b32_e64 v14, 0, -1, s[0:1]
	v_cmp_le_u32_e64 s[0:1], s28, v13
	v_cndmask_b32_e64 v13, 0, -1, s[0:1]
	v_cmp_eq_u32_e64 s[0:1], s29, v12
	v_cndmask_b32_e64 v12, v14, v13, s[0:1]
	v_add_co_u32_e64 v13, s[0:1], 2, v8
	v_addc_co_u32_e64 v14, s[0:1], 0, v11, s[0:1]
	v_add_co_u32_e64 v15, s[0:1], 1, v8
	v_addc_co_u32_e64 v16, s[0:1], 0, v11, s[0:1]
	v_subb_co_u32_e32 v4, vcc, v10, v4, vcc
	v_cmp_ne_u32_e64 s[0:1], 0, v12
	v_cmp_le_u32_e32 vcc, s29, v4
	v_cndmask_b32_e64 v12, v16, v14, s[0:1]
	v_cndmask_b32_e64 v14, 0, -1, vcc
	v_cmp_le_u32_e32 vcc, s28, v3
	v_cndmask_b32_e64 v3, 0, -1, vcc
	v_cmp_eq_u32_e32 vcc, s29, v4
	v_cndmask_b32_e32 v3, v14, v3, vcc
	v_cmp_ne_u32_e32 vcc, 0, v3
	v_cndmask_b32_e64 v3, v15, v13, s[0:1]
	v_cndmask_b32_e32 v4, v11, v12, vcc
	v_cndmask_b32_e32 v3, v8, v3, vcc
.LBB0_4:                                ;   in Loop: Header=BB0_2 Depth=1
	s_andn2_saveexec_b64 s[0:1], s[30:31]
	s_cbranch_execz .LBB0_6
; %bb.5:                                ;   in Loop: Header=BB0_2 Depth=1
	v_cvt_f32_u32_e32 v3, s28
	s_sub_i32 s30, 0, s28
	v_rcp_iflag_f32_e32 v3, v3
	v_mul_f32_e32 v3, 0x4f7ffffe, v3
	v_cvt_u32_f32_e32 v3, v3
	v_mul_lo_u32 v4, s30, v3
	v_mul_hi_u32 v4, v3, v4
	v_add_u32_e32 v3, v3, v4
	v_mul_hi_u32 v3, v9, v3
	v_mul_lo_u32 v4, v3, s28
	v_add_u32_e32 v8, 1, v3
	v_sub_u32_e32 v4, v9, v4
	v_subrev_u32_e32 v11, s28, v4
	v_cmp_le_u32_e32 vcc, s28, v4
	v_cndmask_b32_e32 v4, v4, v11, vcc
	v_cndmask_b32_e32 v3, v3, v8, vcc
	v_add_u32_e32 v8, 1, v3
	v_cmp_le_u32_e32 vcc, s28, v4
	v_cndmask_b32_e32 v3, v3, v8, vcc
	v_mov_b32_e32 v4, v7
.LBB0_6:                                ;   in Loop: Header=BB0_2 Depth=1
	s_or_b64 exec, exec, s[0:1]
	v_mul_lo_u32 v8, v4, s28
	v_mul_lo_u32 v13, v3, s29
	v_mad_u64_u32 v[11:12], s[0:1], v3, s28, 0
	s_load_dwordx2 s[0:1], s[22:23], 0x0
	s_load_dwordx2 s[28:29], s[6:7], 0x0
	v_add3_u32 v8, v12, v13, v8
	v_sub_co_u32_e32 v9, vcc, v9, v11
	v_subb_co_u32_e32 v8, vcc, v10, v8, vcc
	s_waitcnt lgkmcnt(0)
	v_mul_lo_u32 v10, s0, v8
	v_mul_lo_u32 v11, s1, v9
	v_mad_u64_u32 v[5:6], s[0:1], s0, v9, v[5:6]
	v_mul_lo_u32 v8, s28, v8
	v_mul_lo_u32 v12, s29, v9
	v_mad_u64_u32 v[1:2], s[0:1], s28, v9, v[1:2]
	s_add_u32 s26, s26, 1
	s_addc_u32 s27, s27, 0
	s_add_u32 s6, s6, 8
	v_add3_u32 v2, v12, v2, v8
	s_addc_u32 s7, s7, 0
	v_mov_b32_e32 v8, s14
	s_add_u32 s22, s22, 8
	v_mov_b32_e32 v9, s15
	s_addc_u32 s23, s23, 0
	v_cmp_ge_u64_e32 vcc, s[26:27], v[8:9]
	s_add_u32 s24, s24, 8
	v_add3_u32 v6, v11, v6, v10
	s_addc_u32 s25, s25, 0
	s_cbranch_vccnz .LBB0_9
; %bb.7:                                ;   in Loop: Header=BB0_2 Depth=1
	v_mov_b32_e32 v10, v4
	v_mov_b32_e32 v9, v3
	s_branch .LBB0_2
.LBB0_8:
	v_mov_b32_e32 v1, v5
	v_mov_b32_e32 v3, v9
	;; [unrolled: 1-line block ×4, first 2 shown]
.LBB0_9:
	s_load_dwordx2 s[0:1], s[4:5], 0x28
	s_lshl_b64 s[14:15], s[14:15], 3
	s_add_u32 s4, s18, s14
	s_addc_u32 s5, s19, s15
                                        ; implicit-def: $sgpr18_sgpr19
                                        ; implicit-def: $sgpr22
                                        ; implicit-def: $vgpr26
                                        ; implicit-def: $vgpr19
                                        ; implicit-def: $vgpr20
	s_waitcnt lgkmcnt(0)
	v_cmp_gt_u64_e32 vcc, s[0:1], v[3:4]
	v_cmp_le_u64_e64 s[0:1], s[0:1], v[3:4]
	s_and_saveexec_b64 s[6:7], s[0:1]
	s_xor_b64 s[0:1], exec, s[6:7]
; %bb.10:
	s_mov_b32 s6, 0x1745d18
	v_mul_hi_u32 v5, v0, s6
	s_mov_b32 s22, 0
	s_mov_b64 s[18:19], 0
	v_mul_u32_u24_e32 v5, 0xb0, v5
	v_sub_u32_e32 v26, v0, v5
	v_add_u32_e32 v19, 0xb0, v26
	v_add_u32_e32 v20, 0x160, v26
                                        ; implicit-def: $vgpr0
                                        ; implicit-def: $vgpr5_vgpr6
; %bb.11:
	s_or_saveexec_b64 s[6:7], s[0:1]
	v_mov_b32_e32 v7, s18
	v_mov_b32_e32 v13, s18
	;; [unrolled: 1-line block ×7, first 2 shown]
                                        ; implicit-def: $vgpr10
                                        ; implicit-def: $vgpr12
                                        ; implicit-def: $vgpr16
	s_xor_b64 exec, exec, s[6:7]
	s_cbranch_execz .LBB0_13
; %bb.12:
	s_add_u32 s0, s16, s14
	s_mov_b32 s14, 0x1745d18
	v_mul_hi_u32 v7, v0, s14
	s_addc_u32 s1, s17, s15
	s_load_dwordx2 s[0:1], s[0:1], 0x0
	v_lshlrev_b64 v[5:6], 3, v[5:6]
	v_mul_u32_u24_e32 v7, 0xb0, v7
	v_sub_u32_e32 v26, v0, v7
	v_mad_u64_u32 v[7:8], s[14:15], s20, v26, 0
	s_waitcnt lgkmcnt(0)
	v_mul_lo_u32 v13, s1, v3
	v_mul_lo_u32 v14, s0, v4
	v_mad_u64_u32 v[9:10], s[0:1], s0, v3, 0
	v_mov_b32_e32 v0, v8
	v_mad_u64_u32 v[11:12], s[0:1], s21, v26, v[0:1]
	v_add3_u32 v10, v10, v14, v13
	v_lshlrev_b64 v[9:10], 3, v[9:10]
	v_mov_b32_e32 v8, v11
	v_mov_b32_e32 v0, s9
	v_add_co_u32_e64 v11, s[0:1], s8, v9
	v_add_u32_e32 v12, 0x210, v26
	v_addc_co_u32_e64 v0, s[0:1], v0, v10, s[0:1]
	v_mad_u64_u32 v[9:10], s[0:1], s20, v12, 0
	v_add_co_u32_e64 v25, s[0:1], v11, v5
	v_addc_co_u32_e64 v29, s[0:1], v0, v6, s[0:1]
	v_mov_b32_e32 v0, v10
	v_add_u32_e32 v19, 0xb0, v26
	v_lshlrev_b64 v[5:6], 3, v[7:8]
	v_mad_u64_u32 v[7:8], s[0:1], s21, v12, v[0:1]
	v_mad_u64_u32 v[11:12], s[0:1], s20, v19, 0
	v_add_co_u32_e64 v5, s[0:1], v25, v5
	v_mov_b32_e32 v10, v7
	v_mov_b32_e32 v0, v12
	v_addc_co_u32_e64 v6, s[0:1], v29, v6, s[0:1]
	v_lshlrev_b64 v[7:8], 3, v[9:10]
	v_mad_u64_u32 v[9:10], s[0:1], s21, v19, v[0:1]
	v_add_u32_e32 v10, 0x2c0, v26
	v_mad_u64_u32 v[13:14], s[0:1], s20, v10, 0
	v_add_co_u32_e64 v15, s[0:1], v25, v7
	v_mov_b32_e32 v0, v14
	v_addc_co_u32_e64 v16, s[0:1], v29, v8, s[0:1]
	v_mov_b32_e32 v12, v9
	v_mad_u64_u32 v[9:10], s[0:1], s21, v10, v[0:1]
	v_add_u32_e32 v20, 0x160, v26
	v_lshlrev_b64 v[7:8], 3, v[11:12]
	v_mad_u64_u32 v[10:11], s[0:1], s20, v20, 0
	v_add_co_u32_e64 v17, s[0:1], v25, v7
	v_mov_b32_e32 v14, v9
	v_add_u32_e32 v9, 0x370, v26
	v_addc_co_u32_e64 v18, s[0:1], v29, v8, s[0:1]
	v_mov_b32_e32 v0, v11
	v_mad_u64_u32 v[21:22], s[0:1], s20, v9, 0
	v_mad_u64_u32 v[11:12], s[0:1], s21, v20, v[0:1]
	v_lshlrev_b64 v[7:8], 3, v[13:14]
	v_mov_b32_e32 v0, v22
	v_add_co_u32_e64 v23, s[0:1], v25, v7
	v_addc_co_u32_e64 v24, s[0:1], v29, v8, s[0:1]
	v_lshlrev_b64 v[7:8], 3, v[10:11]
	v_mad_u64_u32 v[9:10], s[0:1], s21, v9, v[0:1]
	v_add_co_u32_e64 v27, s[0:1], v25, v7
	v_mov_b32_e32 v22, v9
	v_addc_co_u32_e64 v28, s[0:1], v29, v8, s[0:1]
	global_load_dwordx2 v[7:8], v[5:6], off
	global_load_dwordx2 v[9:10], v[15:16], off
	;; [unrolled: 1-line block ×4, first 2 shown]
	v_lshlrev_b64 v[5:6], 3, v[21:22]
	v_add_co_u32_e64 v5, s[0:1], v25, v5
	v_addc_co_u32_e64 v6, s[0:1], v29, v6, s[0:1]
	global_load_dwordx2 v[17:18], v[27:28], off
	global_load_dwordx2 v[15:16], v[5:6], off
	v_mov_b32_e32 v25, v26
.LBB0_13:
	s_or_b64 exec, exec, s[6:7]
	s_waitcnt vmcnt(4)
	v_sub_f32_e32 v6, v7, v9
	s_waitcnt vmcnt(2)
	v_sub_f32_e32 v11, v13, v11
	v_sub_f32_e32 v9, v8, v10
	v_fma_f32 v5, v7, 2.0, -v6
	v_fma_f32 v10, v13, 2.0, -v11
	s_waitcnt vmcnt(0)
	v_sub_f32_e32 v13, v17, v15
	v_sub_f32_e32 v15, v18, v16
	v_lshl_add_u32 v16, v26, 3, 0
	v_lshl_add_u32 v0, v19, 3, 0
	v_sub_f32_e32 v22, v14, v12
	v_fma_f32 v12, v17, 2.0, -v13
	ds_write_b64 v16, v[5:6]
	ds_write_b64 v0, v[10:11]
	v_lshl_add_u32 v27, v20, 3, 0
	v_lshlrev_b32_e32 v11, 2, v26
	v_lshlrev_b32_e32 v30, 2, v20
	v_fma_f32 v8, v8, 2.0, -v9
	ds_write_b64 v27, v[12:13]
	v_sub_u32_e32 v12, v16, v11
	v_lshlrev_b32_e32 v29, 2, v19
	v_sub_u32_e32 v33, v27, v30
	s_load_dwordx2 s[4:5], s[4:5], 0x0
	v_fma_f32 v21, v14, 2.0, -v22
	v_fma_f32 v14, v18, 2.0, -v15
	s_waitcnt lgkmcnt(0)
	s_barrier
	ds_read_b32 v13, v12
	v_add_u32_e32 v31, 0x800, v12
	v_sub_u32_e32 v32, v0, v29
	ds_read_b32 v17, v33
	ds_read_b32 v18, v32
	ds_read_b32 v23, v12 offset:3520
	ds_read2_b32 v[5:6], v31 offset0:16 offset1:192
	s_waitcnt lgkmcnt(0)
	s_barrier
	ds_write_b64 v16, v[8:9]
	ds_write_b64 v0, v[21:22]
	;; [unrolled: 1-line block ×3, first 2 shown]
	v_and_b32_e32 v9, 1, v26
	v_lshlrev_b32_e32 v7, 3, v9
	s_waitcnt lgkmcnt(0)
	s_barrier
	global_load_dwordx2 v[7:8], v7, s[12:13]
	s_movk_i32 s0, 0x1fc
	v_lshlrev_b32_e32 v14, 1, v26
	v_lshlrev_b32_e32 v15, 1, v19
	s_movk_i32 s1, 0x3fc
	v_lshlrev_b32_e32 v19, 1, v20
	s_movk_i32 s6, 0x7fc
	v_and_or_b32 v10, v14, s0, v9
	v_and_or_b32 v20, v15, s1, v9
	;; [unrolled: 1-line block ×3, first 2 shown]
	v_lshl_add_u32 v21, v10, 2, 0
	v_lshl_add_u32 v22, v9, 2, 0
	ds_read2_b32 v[9:10], v31 offset0:16 offset1:192
	ds_read_b32 v24, v33
	ds_read_b32 v28, v32
	ds_read_b32 v34, v12 offset:3520
	ds_read_b32 v35, v12
	v_lshl_add_u32 v20, v20, 2, 0
	s_waitcnt vmcnt(0) lgkmcnt(0)
	s_barrier
	s_movk_i32 s0, 0x1f8
	s_movk_i32 s1, 0x3f8
	;; [unrolled: 1-line block ×4, first 2 shown]
                                        ; implicit-def: $vgpr43
	v_mul_f32_e32 v36, v9, v8
	v_mul_f32_e32 v37, v10, v8
	;; [unrolled: 1-line block ×4, first 2 shown]
	v_fmac_f32_e32 v36, v5, v7
	v_mul_f32_e32 v39, v6, v8
	v_mul_f32_e32 v8, v23, v8
	v_fmac_f32_e32 v37, v6, v7
	v_fma_f32 v5, v9, v7, -v38
	v_fmac_f32_e32 v40, v23, v7
	v_sub_f32_e32 v6, v13, v36
	v_fma_f32 v9, v10, v7, -v39
	v_fma_f32 v7, v34, v7, -v8
	v_sub_f32_e32 v8, v18, v37
	v_sub_f32_e32 v10, v17, v40
	;; [unrolled: 1-line block ×3, first 2 shown]
	v_fma_f32 v5, v13, 2.0, -v6
	v_fma_f32 v13, v18, 2.0, -v8
	;; [unrolled: 1-line block ×3, first 2 shown]
	ds_write2_b32 v21, v5, v6 offset1:2
	ds_write2_b32 v20, v13, v8 offset1:2
	;; [unrolled: 1-line block ×3, first 2 shown]
	v_fma_f32 v8, v35, 2.0, -v23
	s_waitcnt lgkmcnt(0)
	s_barrier
	ds_read_b32 v13, v12
	ds_read_b32 v17, v33
	;; [unrolled: 1-line block ×3, first 2 shown]
	ds_read_b32 v34, v12 offset:3520
	ds_read2_b32 v[5:6], v31 offset0:16 offset1:192
	s_waitcnt lgkmcnt(0)
	s_barrier
	ds_write2_b32 v21, v8, v23 offset1:2
	v_sub_f32_e32 v8, v28, v9
	v_fma_f32 v9, v28, 2.0, -v8
	v_sub_f32_e32 v7, v24, v7
	ds_write2_b32 v20, v9, v8 offset1:2
	v_fma_f32 v8, v24, 2.0, -v7
	v_and_b32_e32 v9, 3, v26
	ds_write2_b32 v22, v8, v7 offset1:2
	v_lshlrev_b32_e32 v7, 3, v9
	s_waitcnt lgkmcnt(0)
	s_barrier
	global_load_dwordx2 v[7:8], v7, s[12:13] offset:16
	v_and_or_b32 v10, v14, s0, v9
	v_and_or_b32 v20, v15, s1, v9
	;; [unrolled: 1-line block ×3, first 2 shown]
	v_lshl_add_u32 v22, v10, 2, 0
	v_lshl_add_u32 v23, v9, 2, 0
	ds_read2_b32 v[9:10], v31 offset0:16 offset1:192
	ds_read_b32 v21, v33
	ds_read_b32 v24, v32
	ds_read_b32 v28, v12 offset:3520
	ds_read_b32 v35, v12
	v_lshl_add_u32 v20, v20, 2, 0
	s_waitcnt vmcnt(0) lgkmcnt(0)
	s_barrier
	s_movk_i32 s0, 0x1f0
	s_movk_i32 s1, 0x3f0
	;; [unrolled: 1-line block ×3, first 2 shown]
	v_mul_f32_e32 v36, v9, v8
	v_mul_f32_e32 v37, v10, v8
	;; [unrolled: 1-line block ×6, first 2 shown]
	v_fmac_f32_e32 v36, v5, v7
	v_fmac_f32_e32 v37, v6, v7
	v_fma_f32 v5, v9, v7, -v38
	v_fmac_f32_e32 v40, v34, v7
	v_fma_f32 v6, v10, v7, -v39
	v_fma_f32 v7, v28, v7, -v8
	v_sub_f32_e32 v8, v13, v36
	v_sub_f32_e32 v9, v18, v37
	;; [unrolled: 1-line block ×6, first 2 shown]
	v_fma_f32 v5, v13, 2.0, -v8
	v_fma_f32 v6, v18, 2.0, -v9
	;; [unrolled: 1-line block ×6, first 2 shown]
	ds_write2_b32 v22, v5, v8 offset1:4
	ds_write2_b32 v20, v6, v9 offset1:4
	;; [unrolled: 1-line block ×3, first 2 shown]
	s_waitcnt lgkmcnt(0)
	s_barrier
	ds_read_b32 v9, v12
	ds_read_b32 v13, v33
	;; [unrolled: 1-line block ×3, first 2 shown]
	ds_read_b32 v21, v12 offset:3520
	ds_read2_b32 v[5:6], v31 offset0:16 offset1:192
	s_waitcnt lgkmcnt(0)
	s_barrier
	ds_write2_b32 v22, v17, v28 offset1:4
	ds_write2_b32 v20, v18, v34 offset1:4
	;; [unrolled: 1-line block ×3, first 2 shown]
	v_and_b32_e32 v7, 7, v26
	v_lshlrev_b32_e32 v8, 3, v7
	s_waitcnt lgkmcnt(0)
	s_barrier
	global_load_dwordx2 v[17:18], v8, s[12:13] offset:48
	v_sub_u32_e32 v8, 0, v11
	v_and_or_b32 v10, v14, s0, v7
	v_and_or_b32 v11, v15, s1, v7
	v_and_or_b32 v7, v19, s6, v7
	ds_read2_b32 v[19:20], v31 offset0:16 offset1:192
	ds_read_b32 v31, v33
	ds_read_b32 v32, v32
	ds_read_b32 v34, v12 offset:3520
	ds_read_b32 v33, v12
	v_lshl_add_u32 v22, v10, 2, 0
	v_lshl_add_u32 v23, v11, 2, 0
	;; [unrolled: 1-line block ×3, first 2 shown]
	v_add_u32_e32 v28, v16, v8
	v_cmp_gt_u32_e64 s[0:1], s7, v26
	s_waitcnt vmcnt(0) lgkmcnt(0)
	s_barrier
	s_waitcnt lgkmcnt(0)
                                        ; implicit-def: $vgpr14
                                        ; implicit-def: $vgpr16
	v_mul_f32_e32 v7, v19, v18
	v_mul_f32_e32 v10, v20, v18
	;; [unrolled: 1-line block ×3, first 2 shown]
	v_fmac_f32_e32 v7, v5, v17
	v_fmac_f32_e32 v10, v6, v17
	v_fmac_f32_e32 v11, v21, v17
	v_sub_f32_e32 v8, v9, v7
	v_sub_f32_e32 v12, v35, v10
	;; [unrolled: 1-line block ×3, first 2 shown]
	v_fma_f32 v7, v9, 2.0, -v8
	v_fma_f32 v11, v35, 2.0, -v12
	;; [unrolled: 1-line block ×3, first 2 shown]
	ds_write2_b32 v22, v7, v8 offset1:8
	ds_write2_b32 v23, v11, v12 offset1:8
	;; [unrolled: 1-line block ×3, first 2 shown]
	s_waitcnt lgkmcnt(0)
	s_barrier
	s_and_saveexec_b64 s[6:7], s[0:1]
	s_cbranch_execz .LBB0_15
; %bb.14:
	v_add_u32_e32 v9, 0x200, v28
	v_add_u32_e32 v13, 0x800, v28
	ds_read2_b32 v[11:12], v9 offset0:64 offset1:160
	v_add_u32_e32 v9, 0x400, v28
	ds_read2_b32 v[15:16], v13 offset0:64 offset1:160
	v_add_u32_e32 v13, 0xc00, v28
	ds_read2_b32 v[7:8], v28 offset1:96
	ds_read2_b32 v[9:10], v9 offset0:128 offset1:224
	ds_read2_b32 v[13:14], v13 offset1:96
	ds_read_b32 v43, v28 offset:3840
.LBB0_15:
	s_or_b64 exec, exec, s[6:7]
	v_mul_f32_e32 v5, v5, v18
	v_mul_f32_e32 v6, v6, v18
	v_fma_f32 v5, v19, v17, -v5
	v_fma_f32 v19, v20, v17, -v6
	v_mul_f32_e32 v6, v21, v18
	v_fma_f32 v17, v34, v17, -v6
	v_sub_f32_e32 v6, v33, v5
	v_sub_f32_e32 v20, v32, v19
	;; [unrolled: 1-line block ×3, first 2 shown]
	v_fma_f32 v5, v33, 2.0, -v6
	v_fma_f32 v19, v32, 2.0, -v20
	;; [unrolled: 1-line block ×3, first 2 shown]
	s_waitcnt lgkmcnt(0)
	s_barrier
	ds_write2_b32 v22, v5, v6 offset1:8
	ds_write2_b32 v23, v19, v20 offset1:8
	;; [unrolled: 1-line block ×3, first 2 shown]
	s_waitcnt lgkmcnt(0)
	s_barrier
	s_waitcnt lgkmcnt(0)
                                        ; implicit-def: $vgpr44
                                        ; implicit-def: $vgpr24
	s_and_saveexec_b64 s[6:7], s[0:1]
	s_cbranch_execz .LBB0_17
; %bb.16:
	v_add_u32_e32 v17, 0x200, v28
	ds_read2_b32 v[19:20], v17 offset0:64 offset1:160
	v_lshl_add_u32 v17, v26, 2, 0
	v_add_u32_e32 v21, 0x600, v28
	v_add_u32_e32 v23, 0x80, v28
	ds_read2_b32 v[5:6], v28 offset1:96
	ds_read2st64_b32 v[17:18], v17 offset0:6 offset1:12
	ds_read2_b32 v[21:22], v21 offset0:96 offset1:192
	ds_read2st64_b32 v[23:24], v23 offset0:10 offset1:13
	ds_read_b32 v44, v28 offset:3840
.LBB0_17:
	s_or_b64 exec, exec, s[6:7]
	v_and_b32_e32 v31, 15, v26
	v_mul_u32_u24_e32 v32, 10, v31
	v_lshlrev_b32_e32 v32, 3, v32
	global_load_dwordx4 v[45:48], v32, s[12:13] offset:112
	global_load_dwordx4 v[49:52], v32, s[12:13] offset:128
	;; [unrolled: 1-line block ×5, first 2 shown]
	v_sub_u32_e32 v40, 0, v29
	v_sub_u32_e32 v39, 0, v30
	s_waitcnt vmcnt(0) lgkmcnt(0)
	s_barrier
	v_mul_f32_e32 v38, v6, v46
	v_mul_f32_e32 v36, v8, v46
	v_mul_f32_e32 v35, v19, v48
	v_mul_f32_e32 v37, v11, v48
	v_mul_f32_e32 v34, v20, v50
	v_mul_f32_e32 v46, v12, v50
	v_mul_f32_e32 v32, v17, v52
	v_mul_f32_e32 v48, v9, v52
	v_mul_f32_e32 v29, v21, v54
	v_mul_f32_e32 v50, v10, v54
	v_mul_f32_e32 v52, v15, v56
	v_mul_f32_e32 v30, v22, v56
	v_mul_f32_e32 v33, v23, v58
	v_mul_f32_e32 v54, v16, v58
	v_fmac_f32_e32 v38, v8, v45
	v_fma_f32 v41, v6, v45, -v36
	v_fmac_f32_e32 v35, v11, v47
	v_fma_f32 v36, v19, v47, -v37
	v_mul_f32_e32 v6, v13, v60
	v_mul_f32_e32 v19, v18, v60
	;; [unrolled: 1-line block ×6, first 2 shown]
	v_fmac_f32_e32 v34, v12, v49
	v_fma_f32 v20, v20, v49, -v46
	v_fmac_f32_e32 v32, v9, v51
	v_fma_f32 v17, v17, v51, -v48
	;; [unrolled: 2-line block ×3, first 2 shown]
	v_fma_f32 v10, v22, v55, -v52
	v_fmac_f32_e32 v30, v15, v55
	v_fmac_f32_e32 v33, v16, v57
	v_fma_f32 v16, v18, v59, -v6
	v_fma_f32 v15, v23, v57, -v54
	v_fmac_f32_e32 v19, v13, v59
	v_fmac_f32_e32 v37, v14, v61
	v_fma_f32 v18, v24, v61, -v8
	v_fmac_f32_e32 v42, v43, v63
	v_fma_f32 v22, v44, v63, -v11
	v_lshrrev_b32_e32 v8, 4, v26
	s_and_saveexec_b64 s[6:7], s[0:1]
	s_cbranch_execz .LBB0_19
; %bb.18:
	v_sub_f32_e32 v11, v41, v22
	v_add_f32_e32 v6, v38, v42
	v_mul_f32_e32 v12, 0xbe903f40, v11
	s_mov_b32 s8, 0xbf75a155
	v_sub_f32_e32 v21, v36, v18
	v_fma_f32 v13, v6, s8, -v12
	v_add_f32_e32 v14, v35, v37
	v_mul_f32_e32 v23, 0x3f0a6770, v21
	s_mov_b32 s9, 0x3f575c64
	v_add_f32_e32 v13, v7, v13
	v_fma_f32 v24, v14, s9, -v23
	v_sub_f32_e32 v43, v20, v16
	v_add_f32_e32 v13, v24, v13
	v_add_f32_e32 v24, v34, v19
	v_mul_f32_e32 v44, 0xbf4178ce, v43
	s_mov_b32 s14, 0xbf27a4f4
	v_fma_f32 v45, v24, s14, -v44
	v_sub_f32_e32 v46, v17, v15
	v_fmac_f32_e32 v12, 0xbf75a155, v6
	v_add_f32_e32 v13, v45, v13
	v_add_f32_e32 v45, v32, v33
	v_mul_f32_e32 v47, 0x3f68dda4, v46
	s_mov_b32 s15, 0x3ed4b147
	v_add_f32_e32 v12, v7, v12
	v_fmac_f32_e32 v23, 0x3f575c64, v14
	v_fma_f32 v48, v45, s15, -v47
	v_sub_f32_e32 v49, v9, v10
	v_add_f32_e32 v12, v23, v12
	v_fmac_f32_e32 v44, 0xbf27a4f4, v24
	v_add_f32_e32 v13, v48, v13
	s_mov_b32 s16, 0xbe11bafb
	v_add_f32_e32 v48, v29, v30
	v_mul_f32_e32 v50, 0xbf7d64f0, v49
	v_add_f32_e32 v12, v44, v12
	v_fmac_f32_e32 v47, 0x3ed4b147, v45
	v_mul_f32_e32 v23, 0xbf4178ce, v11
	v_fma_f32 v51, v48, s16, -v50
	v_add_f32_e32 v12, v47, v12
	v_fmac_f32_e32 v50, 0xbe11bafb, v48
	v_fma_f32 v44, v6, s14, -v23
	v_mul_f32_e32 v47, 0x3f7d64f0, v21
	v_add_f32_e32 v12, v50, v12
	v_add_f32_e32 v44, v7, v44
	v_fma_f32 v50, v14, s16, -v47
	v_add_f32_e32 v44, v50, v44
	v_mul_f32_e32 v50, 0xbf0a6770, v43
	v_add_f32_e32 v13, v51, v13
	v_fma_f32 v51, v24, s9, -v50
	v_fmac_f32_e32 v23, 0xbf27a4f4, v6
	v_add_f32_e32 v44, v51, v44
	v_mul_f32_e32 v51, 0xbe903f40, v46
	v_add_f32_e32 v23, v7, v23
	v_fmac_f32_e32 v47, 0xbe11bafb, v14
	v_fma_f32 v52, v45, s8, -v51
	v_add_f32_e32 v23, v47, v23
	v_fmac_f32_e32 v50, 0x3f575c64, v24
	v_add_f32_e32 v44, v52, v44
	v_mul_f32_e32 v52, 0x3f68dda4, v49
	v_add_f32_e32 v23, v50, v23
	v_fmac_f32_e32 v51, 0xbf75a155, v45
	v_mul_f32_e32 v47, 0xbf7d64f0, v11
	v_fma_f32 v53, v48, s15, -v52
	v_add_f32_e32 v23, v51, v23
	v_fmac_f32_e32 v52, 0x3ed4b147, v48
	v_fma_f32 v50, v6, s16, -v47
	v_mul_f32_e32 v51, 0x3e903f40, v21
	v_add_f32_e32 v23, v52, v23
	v_add_f32_e32 v50, v7, v50
	v_fma_f32 v52, v14, s8, -v51
	v_add_f32_e32 v50, v52, v50
	v_mul_f32_e32 v52, 0x3f68dda4, v43
	v_add_f32_e32 v44, v53, v44
	v_fma_f32 v53, v24, s15, -v52
	v_fmac_f32_e32 v47, 0xbe11bafb, v6
	v_add_f32_e32 v50, v53, v50
	v_mul_f32_e32 v53, 0xbf0a6770, v46
	v_add_f32_e32 v47, v7, v47
	v_fmac_f32_e32 v51, 0xbf75a155, v14
	v_fma_f32 v54, v45, s9, -v53
	v_add_f32_e32 v47, v51, v47
	v_fmac_f32_e32 v52, 0x3ed4b147, v24
	v_add_f32_e32 v50, v54, v50
	v_mul_f32_e32 v54, 0xbf4178ce, v49
	v_add_f32_e32 v47, v52, v47
	v_fmac_f32_e32 v53, 0x3f575c64, v45
	v_mul_f32_e32 v51, 0xbf68dda4, v11
	v_fma_f32 v55, v48, s14, -v54
	v_add_f32_e32 v47, v53, v47
	v_fmac_f32_e32 v54, 0xbf27a4f4, v48
	v_fma_f32 v52, v6, s15, -v51
	v_mul_f32_e32 v53, 0xbf4178ce, v21
	v_fmac_f32_e32 v51, 0x3ed4b147, v6
	v_add_f32_e32 v47, v54, v47
	v_fma_f32 v54, v14, s14, -v53
	v_add_f32_e32 v51, v7, v51
	v_fmac_f32_e32 v53, 0xbf27a4f4, v14
	v_mul_f32_e32 v11, 0xbf0a6770, v11
	v_add_f32_e32 v51, v53, v51
	v_fma_f32 v53, v6, s9, -v11
	v_fmac_f32_e32 v11, 0x3f575c64, v6
	v_add_f32_e32 v52, v7, v52
	v_add_f32_e32 v53, v7, v53
	;; [unrolled: 1-line block ×7, first 2 shown]
	v_mul_f32_e32 v54, 0x3e903f40, v43
	v_add_f32_e32 v7, v7, v32
	v_add_f32_e32 v50, v55, v50
	v_fma_f32 v55, v24, s8, -v54
	v_fmac_f32_e32 v54, 0xbf75a155, v24
	v_mul_f32_e32 v21, 0xbf68dda4, v21
	v_add_f32_e32 v7, v7, v29
	v_add_f32_e32 v52, v55, v52
	v_mul_f32_e32 v55, 0x3f7d64f0, v46
	v_add_f32_e32 v51, v54, v51
	v_fma_f32 v54, v14, s15, -v21
	v_mul_f32_e32 v43, 0xbf7d64f0, v43
	v_fmac_f32_e32 v21, 0x3ed4b147, v14
	v_add_f32_e32 v7, v7, v30
	v_fma_f32 v56, v45, s16, -v55
	v_add_f32_e32 v53, v54, v53
	v_fma_f32 v54, v24, s16, -v43
	v_mul_f32_e32 v46, 0xbf4178ce, v46
	v_add_f32_e32 v6, v21, v6
	v_fmac_f32_e32 v43, 0xbe11bafb, v24
	v_add_f32_e32 v7, v7, v33
	v_add_f32_e32 v52, v56, v52
	v_mul_f32_e32 v56, 0x3f0a6770, v49
	v_add_f32_e32 v53, v54, v53
	v_fma_f32 v54, v45, s14, -v46
	v_mul_f32_e32 v49, 0xbe903f40, v49
	v_add_f32_e32 v6, v43, v6
	v_fmac_f32_e32 v46, 0xbf27a4f4, v45
	v_add_f32_e32 v7, v7, v19
	v_mul_u32_u24_e32 v11, 0xb0, v8
	v_fmac_f32_e32 v55, 0xbe11bafb, v45
	v_add_f32_e32 v53, v54, v53
	v_fma_f32 v54, v48, s8, -v49
	v_add_f32_e32 v6, v46, v6
	v_fmac_f32_e32 v49, 0xbf75a155, v48
	v_add_f32_e32 v7, v7, v37
	v_or_b32_e32 v11, v11, v31
	v_fma_f32 v57, v48, s9, -v56
	v_add_f32_e32 v51, v55, v51
	v_fmac_f32_e32 v56, 0x3f575c64, v48
	v_add_f32_e32 v6, v49, v6
	v_add_f32_e32 v7, v7, v42
	v_lshl_add_u32 v11, v11, 2, 0
	v_add_f32_e32 v52, v57, v52
	v_add_f32_e32 v51, v56, v51
	v_add_f32_e32 v53, v54, v53
	ds_write2_b32 v11, v7, v6 offset1:16
	ds_write2_b32 v11, v51, v47 offset0:32 offset1:48
	ds_write2_b32 v11, v23, v12 offset0:64 offset1:80
	;; [unrolled: 1-line block ×4, first 2 shown]
	ds_write_b32 v11, v53 offset:640
.LBB0_19:
	s_or_b64 exec, exec, s[6:7]
	v_add_u32_e32 v14, v0, v40
	s_waitcnt lgkmcnt(0)
	s_barrier
	ds_read_b32 v11, v14
	v_add_u32_e32 v21, v27, v39
	ds_read_b32 v13, v28 offset:3520
	ds_read_b32 v0, v28
	ds_read_b32 v12, v21
	v_add_u32_e32 v6, 0x800, v28
	ds_read2_b32 v[6:7], v6 offset0:16 offset1:192
	s_waitcnt lgkmcnt(0)
	s_barrier
	s_and_saveexec_b64 s[6:7], s[0:1]
	s_cbranch_execz .LBB0_21
; %bb.20:
	v_add_f32_e32 v23, v5, v41
	v_add_f32_e32 v23, v23, v36
	;; [unrolled: 1-line block ×11, first 2 shown]
	v_mul_f32_e32 v27, 0x3f575c64, v22
	v_mul_f32_e32 v39, 0x3ed4b147, v22
	;; [unrolled: 1-line block ×5, first 2 shown]
	v_sub_f32_e32 v24, v38, v42
	v_mov_b32_e32 v38, v27
	v_mov_b32_e32 v40, v39
	;; [unrolled: 1-line block ×5, first 2 shown]
	v_fmac_f32_e32 v38, 0x3f0a6770, v24
	v_fmac_f32_e32 v27, 0xbf0a6770, v24
	;; [unrolled: 1-line block ×10, first 2 shown]
	v_add_f32_e32 v18, v36, v18
	v_add_f32_e32 v38, v5, v38
	;; [unrolled: 1-line block ×11, first 2 shown]
	v_sub_f32_e32 v22, v35, v37
	v_mul_f32_e32 v24, 0x3ed4b147, v18
	v_mov_b32_e32 v35, v24
	v_fmac_f32_e32 v24, 0xbf68dda4, v22
	v_add_f32_e32 v24, v24, v27
	v_mul_f32_e32 v27, 0xbf27a4f4, v18
	v_fmac_f32_e32 v35, 0x3f68dda4, v22
	v_mov_b32_e32 v36, v27
	v_fmac_f32_e32 v27, 0xbf4178ce, v22
	v_mul_f32_e32 v37, 0xbf75a155, v18
	v_add_f32_e32 v35, v35, v38
	v_add_f32_e32 v27, v27, v39
	v_mov_b32_e32 v38, v37
	v_fmac_f32_e32 v37, 0x3e903f40, v22
	v_mul_f32_e32 v39, 0xbe11bafb, v18
	v_mul_f32_e32 v18, 0x3f575c64, v18
	v_fmac_f32_e32 v36, 0x3f4178ce, v22
	v_add_f32_e32 v37, v37, v41
	v_mov_b32_e32 v41, v18
	v_fmac_f32_e32 v18, 0x3f0a6770, v22
	v_add_f32_e32 v16, v20, v16
	v_add_f32_e32 v36, v36, v40
	v_mov_b32_e32 v40, v39
	v_add_f32_e32 v5, v18, v5
	v_sub_f32_e32 v18, v34, v19
	v_mul_f32_e32 v19, 0xbe11bafb, v16
	v_fmac_f32_e32 v38, 0xbe903f40, v22
	v_fmac_f32_e32 v40, 0xbf7d64f0, v22
	;; [unrolled: 1-line block ×4, first 2 shown]
	v_mov_b32_e32 v20, v19
	v_fmac_f32_e32 v19, 0xbf7d64f0, v18
	v_mul_f32_e32 v22, 0xbf75a155, v16
	v_add_f32_e32 v19, v19, v24
	v_mov_b32_e32 v24, v22
	v_fmac_f32_e32 v22, 0x3e903f40, v18
	v_fmac_f32_e32 v20, 0x3f7d64f0, v18
	v_add_f32_e32 v22, v22, v27
	v_mul_f32_e32 v27, 0x3ed4b147, v16
	v_add_f32_e32 v20, v20, v35
	v_mov_b32_e32 v34, v27
	v_fmac_f32_e32 v27, 0x3f68dda4, v18
	v_mul_f32_e32 v35, 0x3f575c64, v16
	v_mul_f32_e32 v16, 0xbf27a4f4, v16
	v_fmac_f32_e32 v24, 0xbe903f40, v18
	v_add_f32_e32 v27, v27, v37
	v_mov_b32_e32 v37, v16
	v_fmac_f32_e32 v16, 0xbf4178ce, v18
	v_add_f32_e32 v15, v17, v15
	v_add_f32_e32 v24, v24, v36
	v_mov_b32_e32 v36, v35
	v_add_f32_e32 v5, v16, v5
	v_sub_f32_e32 v16, v32, v33
	v_mul_f32_e32 v17, 0xbf27a4f4, v15
	v_fmac_f32_e32 v34, 0xbf68dda4, v18
	v_fmac_f32_e32 v36, 0x3f0a6770, v18
	;; [unrolled: 1-line block ×4, first 2 shown]
	v_mov_b32_e32 v18, v17
	v_fmac_f32_e32 v17, 0xbf4178ce, v16
	v_fmac_f32_e32 v18, 0x3f4178ce, v16
	v_add_f32_e32 v17, v17, v19
	v_mul_f32_e32 v19, 0xbe11bafb, v15
	v_add_f32_e32 v18, v18, v20
	v_mov_b32_e32 v20, v19
	v_fmac_f32_e32 v19, 0x3f7d64f0, v16
	v_fmac_f32_e32 v20, 0xbf7d64f0, v16
	v_add_f32_e32 v19, v19, v22
	v_mul_f32_e32 v22, 0x3f575c64, v15
	v_add_f32_e32 v20, v20, v24
	v_mov_b32_e32 v24, v22
	v_fmac_f32_e32 v22, 0xbf0a6770, v16
	v_add_f32_e32 v22, v22, v27
	v_mul_f32_e32 v27, 0xbf75a155, v15
	v_mul_f32_e32 v15, 0x3ed4b147, v15
	v_mov_b32_e32 v33, v15
	v_fmac_f32_e32 v15, 0x3f68dda4, v16
	v_add_f32_e32 v9, v9, v10
	v_mov_b32_e32 v32, v27
	v_add_f32_e32 v5, v15, v5
	v_sub_f32_e32 v10, v29, v30
	v_mul_f32_e32 v15, 0xbf75a155, v9
	v_fmac_f32_e32 v24, 0x3f0a6770, v16
	v_fmac_f32_e32 v32, 0x3e903f40, v16
	;; [unrolled: 1-line block ×4, first 2 shown]
	v_mov_b32_e32 v16, v15
	v_fmac_f32_e32 v15, 0xbe903f40, v10
	v_fmac_f32_e32 v16, 0x3e903f40, v10
	v_add_f32_e32 v15, v15, v17
	v_mul_f32_e32 v17, 0x3f575c64, v9
	v_add_f32_e32 v16, v16, v18
	v_mov_b32_e32 v18, v17
	v_fmac_f32_e32 v17, 0x3f0a6770, v10
	v_add_f32_e32 v38, v38, v42
	v_fmac_f32_e32 v18, 0xbf0a6770, v10
	v_add_f32_e32 v17, v17, v19
	v_mul_f32_e32 v19, 0xbf27a4f4, v9
	v_add_f32_e32 v39, v39, v43
	v_add_f32_e32 v34, v34, v38
	;; [unrolled: 1-line block ×3, first 2 shown]
	v_mov_b32_e32 v20, v19
	v_fmac_f32_e32 v19, 0xbf4178ce, v10
	v_add_f32_e32 v35, v35, v39
	v_add_f32_e32 v24, v24, v34
	v_fmac_f32_e32 v20, 0x3f4178ce, v10
	v_add_f32_e32 v19, v19, v22
	v_mul_f32_e32 v22, 0x3ed4b147, v9
	v_add_f32_e32 v40, v40, v44
	v_add_f32_e32 v41, v41, v45
	;; [unrolled: 1-line block ×4, first 2 shown]
	v_mov_b32_e32 v24, v22
	v_fmac_f32_e32 v22, 0x3f68dda4, v10
	v_mul_f32_e32 v9, 0xbe11bafb, v9
	v_mul_u32_u24_e32 v8, 0xb0, v8
	v_add_f32_e32 v36, v36, v40
	v_add_f32_e32 v37, v37, v41
	;; [unrolled: 1-line block ×3, first 2 shown]
	v_mov_b32_e32 v27, v9
	v_or_b32_e32 v8, v8, v31
	v_add_f32_e32 v32, v32, v36
	v_add_f32_e32 v33, v33, v37
	v_fmac_f32_e32 v24, 0xbf68dda4, v10
	v_fmac_f32_e32 v27, 0x3f7d64f0, v10
	;; [unrolled: 1-line block ×3, first 2 shown]
	v_lshl_add_u32 v8, v8, 2, 0
	v_add_f32_e32 v24, v24, v32
	v_add_f32_e32 v27, v27, v33
	;; [unrolled: 1-line block ×3, first 2 shown]
	ds_write2_b32 v8, v23, v16 offset1:16
	ds_write2_b32 v8, v18, v20 offset0:32 offset1:48
	ds_write2_b32 v8, v24, v27 offset0:64 offset1:80
	ds_write2_b32 v8, v5, v22 offset0:96 offset1:112
	ds_write2_b32 v8, v19, v17 offset0:128 offset1:144
	ds_write_b32 v8, v15 offset:640
.LBB0_21:
	s_or_b64 exec, exec, s[6:7]
	s_waitcnt lgkmcnt(0)
	s_barrier
	s_and_saveexec_b64 s[0:1], vcc
	s_cbranch_execz .LBB0_23
; %bb.22:
	v_mul_u32_u24_e32 v5, 5, v26
	v_lshlrev_b32_e32 v5, 3, v5
	global_load_dwordx4 v[15:18], v5, s[12:13] offset:1392
	global_load_dwordx4 v[29:32], v5, s[12:13] offset:1408
	global_load_dwordx2 v[8:9], v5, s[12:13] offset:1424
	v_add_u32_e32 v22, 0x800, v28
	v_mul_lo_u32 v5, s5, v3
	v_mul_lo_u32 v10, s4, v4
	v_mad_u64_u32 v[3:4], s[0:1], s4, v3, 0
	ds_read_b32 v26, v21
	ds_read_b32 v14, v14
	v_mad_u64_u32 v[19:20], s[0:1], s2, v25, 0
	ds_read_b32 v27, v28
	ds_read_b32 v28, v28 offset:3520
	ds_read2_b32 v[21:22], v22 offset0:16 offset1:192
	v_add3_u32 v4, v4, v10, v5
	v_mov_b32_e32 v5, v20
	v_mad_u64_u32 v[23:24], s[0:1], s3, v25, v[5:6]
	v_lshlrev_b64 v[3:4], 3, v[3:4]
	s_waitcnt vmcnt(2)
	v_mul_f32_e32 v5, v12, v18
	s_waitcnt vmcnt(1)
	v_mul_f32_e32 v10, v7, v32
	s_waitcnt lgkmcnt(0)
	v_mul_f32_e32 v20, v22, v32
	v_mul_f32_e32 v32, v6, v29
	s_waitcnt vmcnt(0)
	v_mul_f32_e32 v33, v13, v8
	v_mul_f32_e32 v6, v6, v30
	;; [unrolled: 1-line block ×6, first 2 shown]
	v_fma_f32 v5, v26, v17, -v5
	v_fma_f32 v10, v22, v31, -v10
	v_fmac_f32_e32 v20, v7, v31
	v_fmac_f32_e32 v32, v21, v30
	;; [unrolled: 1-line block ×3, first 2 shown]
	v_fma_f32 v6, v21, v29, -v6
	v_fma_f32 v7, v28, v8, -v13
	v_fmac_f32_e32 v18, v12, v17
	v_fmac_f32_e32 v24, v14, v16
	v_fma_f32 v8, v14, v15, -v11
	v_add_f32_e32 v9, v5, v10
	v_add_f32_e32 v12, v32, v33
	;; [unrolled: 1-line block ×3, first 2 shown]
	v_sub_f32_e32 v13, v6, v7
	v_sub_f32_e32 v15, v32, v33
	v_add_f32_e32 v16, v27, v5
	v_add_f32_e32 v6, v8, v6
	v_fma_f32 v22, -0.5, v9, v27
	v_fma_f32 v9, -0.5, v12, v24
	;; [unrolled: 1-line block ×3, first 2 shown]
	v_sub_f32_e32 v11, v18, v20
	v_add_f32_e32 v17, v18, v20
	v_sub_f32_e32 v21, v5, v10
	v_add_f32_e32 v8, v16, v10
	v_add_f32_e32 v7, v6, v7
	v_mov_b32_e32 v16, v22
	v_mov_b32_e32 v10, v12
	v_fmac_f32_e32 v12, 0x3f5db3d7, v15
	v_add_f32_e32 v5, v0, v18
	v_add_f32_e32 v18, v24, v32
	v_fma_f32 v0, -0.5, v17, v0
	v_mov_b32_e32 v14, v9
	v_fmac_f32_e32 v22, 0x3f5db3d7, v11
	v_fmac_f32_e32 v9, 0xbf5db3d7, v13
	v_sub_f32_e32 v6, v8, v7
	v_add_f32_e32 v8, v8, v7
	v_fmac_f32_e32 v16, 0xbf5db3d7, v11
	v_mul_f32_e32 v7, 0.5, v12
	v_mul_f32_e32 v11, 0xbf5db3d7, v12
	v_add_f32_e32 v17, v5, v20
	v_add_f32_e32 v18, v18, v33
	v_mov_b32_e32 v20, v0
	v_fmac_f32_e32 v0, 0xbf5db3d7, v21
	v_fmac_f32_e32 v10, 0xbf5db3d7, v15
	;; [unrolled: 1-line block ×3, first 2 shown]
	v_fmac_f32_e32 v11, 0.5, v9
	v_sub_f32_e32 v5, v17, v18
	v_fmac_f32_e32 v20, 0x3f5db3d7, v21
	v_mul_f32_e32 v15, -0.5, v10
	v_mul_f32_e32 v21, 0xbf5db3d7, v10
	v_sub_f32_e32 v10, v22, v7
	v_sub_f32_e32 v9, v0, v11
	v_add_f32_e32 v12, v22, v7
	v_add_f32_e32 v11, v0, v11
	;; [unrolled: 1-line block ×3, first 2 shown]
	v_mov_b32_e32 v0, s11
	v_add_co_u32_e32 v17, vcc, s10, v3
	v_add_u32_e32 v18, 0xb0, v25
	v_addc_co_u32_e32 v4, vcc, v0, v4, vcc
	v_lshlrev_b64 v[0:1], 3, v[1:2]
	v_mad_u64_u32 v[2:3], s[0:1], s2, v18, 0
	v_fmac_f32_e32 v14, 0x3f5db3d7, v13
	v_fmac_f32_e32 v15, 0x3f5db3d7, v14
	v_fmac_f32_e32 v21, -0.5, v14
	v_sub_f32_e32 v14, v16, v15
	v_sub_f32_e32 v13, v20, v21
	v_add_f32_e32 v16, v16, v15
	v_add_f32_e32 v15, v20, v21
	v_mov_b32_e32 v20, v23
	v_add_co_u32_e32 v17, vcc, v17, v0
	v_addc_co_u32_e32 v21, vcc, v4, v1, vcc
	v_lshlrev_b64 v[0:1], 3, v[19:20]
	v_mad_u64_u32 v[3:4], s[0:1], s3, v18, v[3:4]
	v_add_co_u32_e32 v0, vcc, v17, v0
	v_addc_co_u32_e32 v1, vcc, v21, v1, vcc
	v_add_u32_e32 v4, 0x160, v25
	global_store_dwordx2 v[0:1], v[7:8], off
	v_lshlrev_b64 v[0:1], 3, v[2:3]
	v_mad_u64_u32 v[2:3], s[0:1], s2, v4, 0
	v_add_co_u32_e32 v0, vcc, v17, v0
	v_mad_u64_u32 v[3:4], s[0:1], s3, v4, v[3:4]
	v_add_u32_e32 v4, 0x210, v25
	v_mad_u64_u32 v[7:8], s[0:1], s2, v4, 0
	v_addc_co_u32_e32 v1, vcc, v21, v1, vcc
	global_store_dwordx2 v[0:1], v[11:12], off
	v_lshlrev_b64 v[0:1], 3, v[2:3]
	v_mov_b32_e32 v2, v8
	v_mad_u64_u32 v[2:3], s[0:1], s3, v4, v[2:3]
	v_add_u32_e32 v4, 0x2c0, v25
	v_add_co_u32_e32 v0, vcc, v17, v0
	v_mov_b32_e32 v8, v2
	v_mad_u64_u32 v[2:3], s[0:1], s2, v4, 0
	v_addc_co_u32_e32 v1, vcc, v21, v1, vcc
	v_mad_u64_u32 v[3:4], s[0:1], s3, v4, v[3:4]
	v_add_u32_e32 v4, 0x370, v25
	global_store_dwordx2 v[0:1], v[15:16], off
	v_lshlrev_b64 v[0:1], 3, v[7:8]
	v_mad_u64_u32 v[7:8], s[0:1], s2, v4, 0
	v_add_co_u32_e32 v0, vcc, v17, v0
	v_addc_co_u32_e32 v1, vcc, v21, v1, vcc
	global_store_dwordx2 v[0:1], v[5:6], off
	v_lshlrev_b64 v[0:1], 3, v[2:3]
	v_mov_b32_e32 v2, v8
	v_mad_u64_u32 v[2:3], s[0:1], s3, v4, v[2:3]
	v_add_co_u32_e32 v0, vcc, v17, v0
	v_addc_co_u32_e32 v1, vcc, v21, v1, vcc
	v_mov_b32_e32 v8, v2
	global_store_dwordx2 v[0:1], v[9:10], off
	v_lshlrev_b64 v[0:1], 3, v[7:8]
	v_add_co_u32_e32 v0, vcc, v17, v0
	v_addc_co_u32_e32 v1, vcc, v21, v1, vcc
	global_store_dwordx2 v[0:1], v[13:14], off
.LBB0_23:
	s_endpgm
	.section	.rodata,"a",@progbits
	.p2align	6, 0x0
	.amdhsa_kernel fft_rtc_back_len1056_factors_2_2_2_2_11_6_wgs_176_tpt_176_halfLds_sp_op_CI_CI_sbrr_dirReg
		.amdhsa_group_segment_fixed_size 0
		.amdhsa_private_segment_fixed_size 0
		.amdhsa_kernarg_size 104
		.amdhsa_user_sgpr_count 6
		.amdhsa_user_sgpr_private_segment_buffer 1
		.amdhsa_user_sgpr_dispatch_ptr 0
		.amdhsa_user_sgpr_queue_ptr 0
		.amdhsa_user_sgpr_kernarg_segment_ptr 1
		.amdhsa_user_sgpr_dispatch_id 0
		.amdhsa_user_sgpr_flat_scratch_init 0
		.amdhsa_user_sgpr_private_segment_size 0
		.amdhsa_uses_dynamic_stack 0
		.amdhsa_system_sgpr_private_segment_wavefront_offset 0
		.amdhsa_system_sgpr_workgroup_id_x 1
		.amdhsa_system_sgpr_workgroup_id_y 0
		.amdhsa_system_sgpr_workgroup_id_z 0
		.amdhsa_system_sgpr_workgroup_info 0
		.amdhsa_system_vgpr_workitem_id 0
		.amdhsa_next_free_vgpr 65
		.amdhsa_next_free_sgpr 32
		.amdhsa_reserve_vcc 1
		.amdhsa_reserve_flat_scratch 0
		.amdhsa_float_round_mode_32 0
		.amdhsa_float_round_mode_16_64 0
		.amdhsa_float_denorm_mode_32 3
		.amdhsa_float_denorm_mode_16_64 3
		.amdhsa_dx10_clamp 1
		.amdhsa_ieee_mode 1
		.amdhsa_fp16_overflow 0
		.amdhsa_exception_fp_ieee_invalid_op 0
		.amdhsa_exception_fp_denorm_src 0
		.amdhsa_exception_fp_ieee_div_zero 0
		.amdhsa_exception_fp_ieee_overflow 0
		.amdhsa_exception_fp_ieee_underflow 0
		.amdhsa_exception_fp_ieee_inexact 0
		.amdhsa_exception_int_div_zero 0
	.end_amdhsa_kernel
	.text
.Lfunc_end0:
	.size	fft_rtc_back_len1056_factors_2_2_2_2_11_6_wgs_176_tpt_176_halfLds_sp_op_CI_CI_sbrr_dirReg, .Lfunc_end0-fft_rtc_back_len1056_factors_2_2_2_2_11_6_wgs_176_tpt_176_halfLds_sp_op_CI_CI_sbrr_dirReg
                                        ; -- End function
	.section	.AMDGPU.csdata,"",@progbits
; Kernel info:
; codeLenInByte = 6560
; NumSgprs: 36
; NumVgprs: 65
; ScratchSize: 0
; MemoryBound: 0
; FloatMode: 240
; IeeeMode: 1
; LDSByteSize: 0 bytes/workgroup (compile time only)
; SGPRBlocks: 4
; VGPRBlocks: 16
; NumSGPRsForWavesPerEU: 36
; NumVGPRsForWavesPerEU: 65
; Occupancy: 3
; WaveLimiterHint : 1
; COMPUTE_PGM_RSRC2:SCRATCH_EN: 0
; COMPUTE_PGM_RSRC2:USER_SGPR: 6
; COMPUTE_PGM_RSRC2:TRAP_HANDLER: 0
; COMPUTE_PGM_RSRC2:TGID_X_EN: 1
; COMPUTE_PGM_RSRC2:TGID_Y_EN: 0
; COMPUTE_PGM_RSRC2:TGID_Z_EN: 0
; COMPUTE_PGM_RSRC2:TIDIG_COMP_CNT: 0
	.type	__hip_cuid_507b2768c594d11b,@object ; @__hip_cuid_507b2768c594d11b
	.section	.bss,"aw",@nobits
	.globl	__hip_cuid_507b2768c594d11b
__hip_cuid_507b2768c594d11b:
	.byte	0                               ; 0x0
	.size	__hip_cuid_507b2768c594d11b, 1

	.ident	"AMD clang version 19.0.0git (https://github.com/RadeonOpenCompute/llvm-project roc-6.4.0 25133 c7fe45cf4b819c5991fe208aaa96edf142730f1d)"
	.section	".note.GNU-stack","",@progbits
	.addrsig
	.addrsig_sym __hip_cuid_507b2768c594d11b
	.amdgpu_metadata
---
amdhsa.kernels:
  - .args:
      - .actual_access:  read_only
        .address_space:  global
        .offset:         0
        .size:           8
        .value_kind:     global_buffer
      - .offset:         8
        .size:           8
        .value_kind:     by_value
      - .actual_access:  read_only
        .address_space:  global
        .offset:         16
        .size:           8
        .value_kind:     global_buffer
      - .actual_access:  read_only
        .address_space:  global
        .offset:         24
        .size:           8
        .value_kind:     global_buffer
      - .actual_access:  read_only
        .address_space:  global
        .offset:         32
        .size:           8
        .value_kind:     global_buffer
      - .offset:         40
        .size:           8
        .value_kind:     by_value
      - .actual_access:  read_only
        .address_space:  global
        .offset:         48
        .size:           8
        .value_kind:     global_buffer
      - .actual_access:  read_only
        .address_space:  global
        .offset:         56
        .size:           8
        .value_kind:     global_buffer
      - .offset:         64
        .size:           4
        .value_kind:     by_value
      - .actual_access:  read_only
        .address_space:  global
        .offset:         72
        .size:           8
        .value_kind:     global_buffer
      - .actual_access:  read_only
        .address_space:  global
        .offset:         80
        .size:           8
        .value_kind:     global_buffer
      - .actual_access:  read_only
        .address_space:  global
        .offset:         88
        .size:           8
        .value_kind:     global_buffer
      - .actual_access:  write_only
        .address_space:  global
        .offset:         96
        .size:           8
        .value_kind:     global_buffer
    .group_segment_fixed_size: 0
    .kernarg_segment_align: 8
    .kernarg_segment_size: 104
    .language:       OpenCL C
    .language_version:
      - 2
      - 0
    .max_flat_workgroup_size: 176
    .name:           fft_rtc_back_len1056_factors_2_2_2_2_11_6_wgs_176_tpt_176_halfLds_sp_op_CI_CI_sbrr_dirReg
    .private_segment_fixed_size: 0
    .sgpr_count:     36
    .sgpr_spill_count: 0
    .symbol:         fft_rtc_back_len1056_factors_2_2_2_2_11_6_wgs_176_tpt_176_halfLds_sp_op_CI_CI_sbrr_dirReg.kd
    .uniform_work_group_size: 1
    .uses_dynamic_stack: false
    .vgpr_count:     65
    .vgpr_spill_count: 0
    .wavefront_size: 64
amdhsa.target:   amdgcn-amd-amdhsa--gfx906
amdhsa.version:
  - 1
  - 2
...

	.end_amdgpu_metadata
